;; amdgpu-corpus repo=ROCm/bitsandbytes kind=harvested arch=n/a opt=n/a
	.text
	.amdgcn_target "amdgcn-amd-amdhsa--gfx90a"
	.amdhsa_code_object_version 6
	.protected	_Z33kPreconditionOptimizer32bit2StateIfLi0ELi4096ELi8EEvPT_S1_PfS2_S2_ffffiffi ; -- Begin function _Z33kPreconditionOptimizer32bit2StateIfLi0ELi4096ELi8EEvPT_S1_PfS2_S2_ffffiffi
	.globl	_Z33kPreconditionOptimizer32bit2StateIfLi0ELi4096ELi8EEvPT_S1_PfS2_S2_ffffiffi
	.p2align	8
	.type	_Z33kPreconditionOptimizer32bit2StateIfLi0ELi4096ELi8EEvPT_S1_PfS2_S2_ffffiffi,@function
_Z33kPreconditionOptimizer32bit2StateIfLi0ELi4096ELi8EEvPT_S1_PfS2_S2_ffffiffi: ; @_Z33kPreconditionOptimizer32bit2StateIfLi0ELi4096ELi8EEvPT_S1_PfS2_S2_ffffiffi
; %bb.0:
	s_load_dwordx2 s[22:23], s[4:5], 0x40
	s_load_dword s2, s[4:5], 0x54
	s_mov_b32 s29, 0
	s_waitcnt lgkmcnt(0)
	s_ashr_i32 s0, s23, 31
	s_lshr_b32 s0, s0, 20
	s_add_i32 s0, s23, s0
	s_and_b32 s1, s23, 0xfff
	s_and_b32 s3, s0, 0xfffff000
	s_cmp_lg_u32 s1, 0
	s_cselect_b64 s[0:1], -1, 0
	v_cndmask_b32_e64 v1, 0, 1, s[0:1]
	v_readfirstlane_b32 s0, v1
	s_lshl_b32 s33, s0, 12
	s_add_i32 s33, s33, s3
	s_add_u32 s12, s4, 0x48
	s_addc_u32 s13, s5, 0
	s_and_b32 s0, s2, 0xffff
	s_mul_i32 s6, s6, s0
	s_lshl_b32 s28, s6, 3
	s_cmp_ge_u32 s28, s33
	s_cbranch_scc1 .LBB62_62
; %bb.1:
	s_load_dword s0, s[4:5], 0x38
	s_load_dwordx4 s[24:27], s[4:5], 0x28
	s_load_dwordx2 s[30:31], s[4:5], 0x20
	s_mov_b32 s17, 0x3f2aaaab
	v_mov_b32_e32 v22, 0x3ecccdef
	s_waitcnt lgkmcnt(0)
	v_cvt_f32_i32_e32 v18, s0
	v_cmp_neq_f32_e64 vcc, s24, 1.0
	v_mov_b32_e32 v19, s24
	s_mov_b32 s18, 0x3f317218
	v_cndmask_b32_e32 v20, 1.0, v18, vcc
	v_cmp_eq_f32_e32 vcc, 0, v20
	v_cndmask_b32_e64 v21, |v19|, 1.0, vcc
	v_frexp_mant_f32_e32 v1, v21
	v_cmp_gt_f32_e64 s[0:1], s17, v1
	v_cndmask_b32_e64 v2, 1.0, 2.0, s[0:1]
	v_mul_f32_e32 v1, v1, v2
	v_add_f32_e32 v2, 1.0, v1
	v_rcp_f32_e32 v10, v2
	v_add_f32_e32 v3, -1.0, v1
	v_add_f32_e32 v4, -1.0, v2
	v_sub_f32_e32 v1, v1, v4
	v_mul_f32_e32 v11, v3, v10
	v_mul_f32_e32 v4, v2, v11
	v_fma_f32 v6, v11, v2, -v4
	v_fmac_f32_e32 v6, v11, v1
	v_add_f32_e32 v2, v4, v6
	v_sub_f32_e32 v5, v3, v2
	v_pk_add_f32 v[8:9], v[2:3], v[4:5] neg_lo:[0,1] neg_hi:[0,1]
	v_mov_b32_e32 v7, v2
	v_pk_add_f32 v[2:3], v[8:9], v[6:7] neg_lo:[0,1] neg_hi:[0,1]
	v_add_f32_e32 v1, v2, v3
	v_add_f32_e32 v1, v5, v1
	v_mul_f32_e32 v1, v10, v1
	v_add_f32_e32 v2, v11, v1
	v_sub_f32_e32 v3, v2, v11
	v_sub_f32_e32 v1, v1, v3
	v_mul_f32_e32 v3, v2, v2
	v_fma_f32 v5, v2, v2, -v3
	v_add_f32_e32 v4, v1, v1
	v_fmac_f32_e32 v5, v2, v4
	v_add_f32_e32 v4, v3, v5
	v_mov_b32_e32 v6, 0x3e91f4c4
	v_fmac_f32_e32 v6, 0x3e76c4e1, v4
	v_fma_f32 v6, v4, v6, v22
	v_sub_f32_e32 v3, v4, v3
	v_sub_f32_e32 v12, v5, v3
	v_mul_f32_e32 v3, v4, v6
	v_fma_f32 v5, v4, v6, -v3
	v_fmac_f32_e32 v5, v12, v6
	v_add_f32_e32 v6, v3, v5
	v_add_f32_e32 v7, 0x3f2aaaaa, v6
	v_sub_f32_e32 v3, v6, v3
	v_sub_f32_e32 v3, v5, v3
	v_add_f32_e32 v5, 0xbf2aaaaa, v7
	v_add_f32_e32 v3, 0x31739010, v3
	v_sub_f32_e32 v5, v6, v5
	v_pk_mul_f32 v[8:9], v[2:3], v[4:5]
	v_fma_f32 v6, v4, v2, -v8
	v_pk_add_f32 v[10:11], v[2:3], v[4:5]
	v_fmac_f32_e32 v6, v4, v1
	v_mov_b32_e32 v9, v11
	v_fmac_f32_e32 v6, v12, v2
	v_pk_add_f32 v[4:5], v[8:9], v[6:7]
	v_sub_f32_e32 v3, v4, v8
	v_sub_f32_e32 v3, v6, v3
	;; [unrolled: 1-line block ×3, first 2 shown]
	v_add_f32_e32 v9, v11, v6
	v_mov_b32_e32 v6, v5
	v_pk_mul_f32 v[6:7], v[4:5], v[6:7]
	v_cvt_f64_f32_e32 v[10:11], v21
	v_frexp_exp_i32_f64_e32 v7, v[10:11]
	v_subbrev_co_u32_e64 v7, s[0:1], 0, v7, s[0:1]
	v_cvt_f32_i32_e32 v7, v7
	v_fma_f32 v8, v4, v5, -v6
	v_fmac_f32_e32 v8, v4, v9
	v_fmac_f32_e32 v8, v3, v5
	v_mul_f32_e32 v4, 0x3f317218, v7
	v_fma_f32 v10, v7, s18, -v4
	v_fmac_f32_e32 v10, 0xb102e308, v7
	v_ldexp_f32 v11, v2, 1
	v_add_f32_e32 v5, v6, v8
	v_pk_add_f32 v[2:3], v[4:5], v[10:11]
	v_mov_b32_e32 v12, v5
	v_mov_b32_e32 v13, v3
	;; [unrolled: 1-line block ×3, first 2 shown]
	v_pk_add_f32 v[6:7], v[12:13], v[6:7] neg_lo:[0,1] neg_hi:[0,1]
	v_mov_b32_e32 v9, v5
	v_ldexp_f32 v1, v1, 1
	v_pk_add_f32 v[6:7], v[8:9], v[6:7] neg_lo:[0,1] neg_hi:[0,1]
	v_add_f32_e32 v1, v1, v6
	v_add_f32_e32 v5, v1, v7
	v_pk_add_f32 v[6:7], v[2:3], v[4:5] neg_lo:[0,1] neg_hi:[0,1]
	v_pk_add_f32 v[8:9], v[2:3], v[4:5]
	v_mov_b32_e32 v12, v6
	v_mov_b32_e32 v13, v9
	;; [unrolled: 1-line block ×3, first 2 shown]
	v_pk_add_f32 v[12:13], v[10:11], v[12:13]
	v_mov_b32_e32 v4, v13
	v_pk_add_f32 v[14:15], v[4:5], v[2:3] neg_lo:[0,1] neg_hi:[0,1]
	v_mov_b32_e32 v1, v14
	v_mov_b32_e32 v12, v9
	;; [unrolled: 1-line block ×4, first 2 shown]
	v_pk_add_f32 v[6:7], v[10:11], v[6:7] neg_lo:[0,1] neg_hi:[0,1]
	v_pk_add_f32 v[16:17], v[8:9], v[0:1] neg_lo:[0,1] neg_hi:[0,1]
	v_pk_add_f32 v[2:3], v[12:13], v[2:3] neg_lo:[0,1] neg_hi:[0,1]
	v_mov_b32_e32 v10, v5
	v_pk_add_f32 v[2:3], v[10:11], v[2:3] neg_lo:[0,1] neg_hi:[0,1]
	v_mov_b32_e32 v16, v6
	v_pk_add_f32 v[8:9], v[16:17], v[2:3]
	v_mov_b32_e32 v10, v9
	v_pk_add_f32 v[10:11], v[8:9], v[10:11]
	v_pk_add_f32 v[4:5], v[4:5], v[10:11]
	v_mov_b32_e32 v7, v13
	v_mov_b32_e32 v9, v4
	v_pk_add_f32 v[12:13], v[8:9], v[6:7] neg_lo:[0,1] neg_hi:[0,1]
	v_mov_b32_e32 v3, v10
	v_sub_f32_e32 v1, v8, v12
	v_pk_add_f32 v[2:3], v[2:3], v[12:13] neg_lo:[0,1] neg_hi:[0,1]
	v_sub_f32_e32 v1, v6, v1
	v_add_f32_e32 v1, v2, v1
	v_add_f32_e32 v1, v1, v3
	;; [unrolled: 1-line block ×3, first 2 shown]
	v_sub_f32_e32 v3, v2, v4
	v_sub_f32_e32 v1, v1, v3
	v_mul_f32_e32 v3, v20, v2
	v_fma_f32 v2, v20, v2, -v3
	v_fmac_f32_e32 v2, v20, v1
	s_movk_i32 s15, 0x204
	v_add_f32_e32 v1, v3, v2
	v_cmp_class_f32_e64 s[0:1], v3, s15
	v_sub_f32_e32 v4, v1, v3
	v_cndmask_b32_e64 v1, v1, v3, s[0:1]
	s_mov_b32 s16, 0x42b17218
	v_mov_b32_e32 v23, 0x37000000
	v_cmp_eq_f32_e64 s[0:1], s16, v1
	v_cndmask_b32_e64 v3, 0, v23, s[0:1]
	v_sub_f32_e32 v2, v2, v4
	v_sub_f32_e32 v4, v1, v3
	s_mov_b32 s19, 0x3fb8aa3b
	v_mul_f32_e32 v5, 0x3fb8aa3b, v4
	v_fma_f32 v6, v4, s19, -v5
	v_rndne_f32_e32 v7, v5
	v_fmac_f32_e32 v6, 0x32a5705f, v4
	v_sub_f32_e32 v5, v5, v7
	v_add_f32_e32 v5, v5, v6
	v_exp_f32_e32 v5, v5
	v_cvt_i32_f32_e32 v6, v7
	s_mov_b32 s14, 0x7f800000
	v_cmp_neq_f32_e64 s[0:1], |v1|, s14
	s_mov_b32 s20, 0xc2ce8ed0
	v_cndmask_b32_e64 v1, 0, v2, s[0:1]
	v_ldexp_f32 v2, v5, v6
	v_cmp_ngt_f32_e64 s[0:1], s20, v4
	v_cndmask_b32_e64 v2, 0, v2, s[0:1]
	v_mov_b32_e32 v24, 0x7f800000
	v_cmp_nlt_f32_e64 s[0:1], s16, v4
	v_add_f32_e32 v1, v3, v1
	v_cndmask_b32_e64 v2, v24, v2, s[0:1]
	v_fma_f32 v1, v2, v1, v2
	v_cmp_class_f32_e64 s[0:1], v2, s15
	v_cndmask_b32_e64 v1, v1, v2, s[0:1]
	v_trunc_f32_e32 v2, v20
	v_cndmask_b32_e64 v19, v19, 1.0, vcc
	v_cmp_eq_f32_e32 vcc, v2, v20
	v_mul_f32_e32 v2, 0.5, v20
	v_trunc_f32_e32 v3, v2
	v_cmp_neq_f32_e64 s[0:1], v3, v2
	s_and_b64 s[0:1], vcc, s[0:1]
	v_cndmask_b32_e64 v2, 1.0, v19, s[0:1]
	s_brev_b32 s21, -2
	v_mov_b32_e32 v25, 0x7fc00000
	v_bfi_b32 v1, s21, v1, v2
	v_cmp_eq_f32_e64 s[2:3], 0, v19
	v_cmp_gt_f32_e64 s[6:7], 0, v20
	v_cndmask_b32_e32 v2, v25, v1, vcc
	v_cmp_gt_f32_e32 vcc, 0, v19
	s_xor_b64 s[6:7], s[6:7], s[2:3]
	v_cndmask_b32_e32 v1, v1, v2, vcc
	v_cmp_eq_f32_e32 vcc, s14, v21
	v_cndmask_b32_e64 v2, v24, 0, s[6:7]
	v_cndmask_b32_e64 v3, 0, v19, s[0:1]
	v_bfi_b32 v2, s21, v2, v3
	s_or_b64 vcc, vcc, s[2:3]
	v_cndmask_b32_e32 v1, v1, v2, vcc
	v_sub_f32_e32 v20, 1.0, v1
	v_div_scale_f32 v1, s[0:1], v20, v20, 1.0
	v_rcp_f32_e32 v2, v1
	v_mov_b32_e32 v26, s25
	v_mov_b32_e32 v10, 0x3e91f4c4
	s_load_dwordx2 s[6:7], s[4:5], 0x0
	s_load_dwordx4 s[8:11], s[4:5], 0x10
	v_fma_f32 v3, -v1, v2, 1.0
	v_fmac_f32_e32 v2, v3, v2
	v_div_scale_f32 v3, vcc, 1.0, v20, 1.0
	v_mul_f32_e32 v4, v3, v2
	v_fma_f32 v5, -v1, v4, v3
	v_fmac_f32_e32 v4, v5, v2
	v_fma_f32 v1, -v1, v4, v3
	v_div_fmas_f32 v21, v1, v2, v4
	v_cmp_neq_f32_e64 vcc, s25, 1.0
	v_cndmask_b32_e32 v18, 1.0, v18, vcc
	v_cmp_eq_f32_e32 vcc, 0, v18
	v_cndmask_b32_e64 v27, |v26|, 1.0, vcc
	v_frexp_mant_f32_e32 v1, v27
	v_cmp_gt_f32_e64 s[0:1], s17, v1
	v_cndmask_b32_e64 v2, 1.0, 2.0, s[0:1]
	v_mul_f32_e32 v1, v1, v2
	v_add_f32_e32 v2, 1.0, v1
	v_rcp_f32_e32 v11, v2
	v_add_f32_e32 v3, -1.0, v2
	v_sub_f32_e32 v5, v1, v3
	v_add_f32_e32 v3, -1.0, v1
	v_mul_f32_e32 v1, v3, v11
	v_mul_f32_e32 v4, v2, v1
	v_fma_f32 v6, v1, v2, -v4
	v_fmac_f32_e32 v6, v1, v5
	v_add_f32_e32 v2, v4, v6
	v_sub_f32_e32 v5, v3, v2
	v_pk_add_f32 v[8:9], v[2:3], v[4:5] neg_lo:[0,1] neg_hi:[0,1]
	v_mov_b32_e32 v7, v2
	v_pk_add_f32 v[2:3], v[8:9], v[6:7] neg_lo:[0,1] neg_hi:[0,1]
	v_add_f32_e32 v2, v2, v3
	v_add_f32_e32 v2, v5, v2
	v_mul_f32_e32 v3, v11, v2
	v_add_f32_e32 v2, v1, v3
	v_sub_f32_e32 v1, v2, v1
	v_sub_f32_e32 v1, v3, v1
	v_mul_f32_e32 v3, v2, v2
	v_fma_f32 v5, v2, v2, -v3
	v_add_f32_e32 v4, v1, v1
	v_fmac_f32_e32 v5, v2, v4
	v_add_f32_e32 v4, v3, v5
	v_fmac_f32_e32 v10, 0x3e76c4e1, v4
	v_fmac_f32_e32 v22, v4, v10
	v_sub_f32_e32 v3, v4, v3
	v_sub_f32_e32 v12, v5, v3
	v_mul_f32_e32 v3, v4, v22
	v_fma_f32 v5, v4, v22, -v3
	v_fmac_f32_e32 v5, v12, v22
	v_add_f32_e32 v6, v3, v5
	v_add_f32_e32 v7, 0x3f2aaaaa, v6
	v_sub_f32_e32 v3, v6, v3
	v_sub_f32_e32 v3, v5, v3
	v_add_f32_e32 v5, 0xbf2aaaaa, v7
	v_add_f32_e32 v3, 0x31739010, v3
	v_sub_f32_e32 v5, v6, v5
	v_pk_mul_f32 v[8:9], v[2:3], v[4:5]
	v_fma_f32 v6, v4, v2, -v8
	v_pk_add_f32 v[10:11], v[2:3], v[4:5]
	v_fmac_f32_e32 v6, v4, v1
	v_mov_b32_e32 v9, v11
	v_fmac_f32_e32 v6, v12, v2
	v_pk_add_f32 v[4:5], v[8:9], v[6:7]
	v_sub_f32_e32 v3, v4, v8
	v_sub_f32_e32 v3, v6, v3
	;; [unrolled: 1-line block ×3, first 2 shown]
	v_add_f32_e32 v10, v11, v6
	v_mov_b32_e32 v6, v5
	v_pk_mul_f32 v[6:7], v[4:5], v[6:7]
	v_cvt_f64_f32_e32 v[8:9], v27
	v_frexp_exp_i32_f64_e32 v7, v[8:9]
	v_subbrev_co_u32_e64 v7, s[0:1], 0, v7, s[0:1]
	v_cvt_f32_i32_e32 v7, v7
	v_fma_f32 v8, v4, v5, -v6
	v_fmac_f32_e32 v8, v4, v10
	v_fmac_f32_e32 v8, v3, v5
	v_mul_f32_e32 v4, 0x3f317218, v7
	v_fma_f32 v10, v7, s18, -v4
	v_fmac_f32_e32 v10, 0xb102e308, v7
	v_ldexp_f32 v11, v2, 1
	v_add_f32_e32 v5, v6, v8
	v_pk_add_f32 v[2:3], v[4:5], v[10:11]
	v_mov_b32_e32 v12, v5
	v_mov_b32_e32 v13, v3
	;; [unrolled: 1-line block ×3, first 2 shown]
	v_pk_add_f32 v[6:7], v[12:13], v[6:7] neg_lo:[0,1] neg_hi:[0,1]
	v_mov_b32_e32 v9, v5
	v_ldexp_f32 v1, v1, 1
	v_pk_add_f32 v[6:7], v[8:9], v[6:7] neg_lo:[0,1] neg_hi:[0,1]
	v_add_f32_e32 v1, v1, v6
	v_add_f32_e32 v5, v1, v7
	v_pk_add_f32 v[6:7], v[2:3], v[4:5] neg_lo:[0,1] neg_hi:[0,1]
	v_pk_add_f32 v[8:9], v[2:3], v[4:5]
	v_mov_b32_e32 v12, v6
	v_mov_b32_e32 v13, v9
	v_mov_b32_e32 v11, v2
	v_pk_add_f32 v[12:13], v[10:11], v[12:13]
	v_mov_b32_e32 v4, v13
	v_pk_add_f32 v[14:15], v[4:5], v[2:3] neg_lo:[0,1] neg_hi:[0,1]
	v_mov_b32_e32 v1, v14
	v_mov_b32_e32 v12, v9
	;; [unrolled: 1-line block ×4, first 2 shown]
	v_pk_add_f32 v[6:7], v[10:11], v[6:7] neg_lo:[0,1] neg_hi:[0,1]
	v_pk_add_f32 v[16:17], v[8:9], v[0:1] neg_lo:[0,1] neg_hi:[0,1]
	v_pk_add_f32 v[2:3], v[12:13], v[2:3] neg_lo:[0,1] neg_hi:[0,1]
	v_mov_b32_e32 v10, v5
	v_pk_add_f32 v[2:3], v[10:11], v[2:3] neg_lo:[0,1] neg_hi:[0,1]
	v_mov_b32_e32 v16, v6
	v_pk_add_f32 v[8:9], v[16:17], v[2:3]
	v_mov_b32_e32 v10, v9
	v_pk_add_f32 v[10:11], v[8:9], v[10:11]
	v_pk_add_f32 v[4:5], v[4:5], v[10:11]
	v_mov_b32_e32 v7, v13
	v_mov_b32_e32 v9, v4
	v_pk_add_f32 v[12:13], v[8:9], v[6:7] neg_lo:[0,1] neg_hi:[0,1]
	v_mov_b32_e32 v3, v10
	v_sub_f32_e32 v1, v8, v12
	v_pk_add_f32 v[2:3], v[2:3], v[12:13] neg_lo:[0,1] neg_hi:[0,1]
	v_sub_f32_e32 v1, v6, v1
	v_add_f32_e32 v1, v2, v1
	v_add_f32_e32 v1, v1, v3
	v_add_f32_e32 v2, v4, v1
	v_sub_f32_e32 v3, v2, v4
	v_sub_f32_e32 v1, v1, v3
	v_mul_f32_e32 v3, v18, v2
	v_fma_f32 v2, v18, v2, -v3
	v_fmac_f32_e32 v2, v18, v1
	v_add_f32_e32 v1, v3, v2
	v_cmp_class_f32_e64 s[0:1], v3, s15
	v_sub_f32_e32 v4, v1, v3
	v_cndmask_b32_e64 v1, v1, v3, s[0:1]
	v_cmp_eq_f32_e64 s[0:1], s16, v1
	v_cndmask_b32_e64 v3, 0, v23, s[0:1]
	v_sub_f32_e32 v2, v2, v4
	v_sub_f32_e32 v4, v1, v3
	v_mul_f32_e32 v5, 0x3fb8aa3b, v4
	v_fma_f32 v6, v4, s19, -v5
	v_rndne_f32_e32 v7, v5
	v_fmac_f32_e32 v6, 0x32a5705f, v4
	v_sub_f32_e32 v5, v5, v7
	v_add_f32_e32 v5, v5, v6
	v_exp_f32_e32 v5, v5
	v_cvt_i32_f32_e32 v6, v7
	v_cmp_neq_f32_e64 s[0:1], |v1|, s14
	v_cndmask_b32_e64 v1, 0, v2, s[0:1]
	v_cmp_ngt_f32_e64 s[0:1], s20, v4
	v_ldexp_f32 v2, v5, v6
	v_cndmask_b32_e64 v2, 0, v2, s[0:1]
	v_cmp_nlt_f32_e64 s[0:1], s16, v4
	v_add_f32_e32 v1, v3, v1
	v_cndmask_b32_e64 v2, v24, v2, s[0:1]
	v_fma_f32 v1, v2, v1, v2
	v_cmp_class_f32_e64 s[0:1], v2, s15
	v_trunc_f32_e32 v3, v18
	v_cndmask_b32_e64 v1, v1, v2, s[0:1]
	v_cndmask_b32_e64 v2, v26, 1.0, vcc
	v_cmp_eq_f32_e32 vcc, v3, v18
	v_mul_f32_e32 v3, 0.5, v18
	v_trunc_f32_e32 v4, v3
	v_cmp_neq_f32_e64 s[0:1], v4, v3
	s_and_b64 s[0:1], vcc, s[0:1]
	v_cndmask_b32_e64 v3, 1.0, v2, s[0:1]
	v_bfi_b32 v1, s21, v1, v3
	v_cmp_eq_f32_e64 s[2:3], 0, v2
	v_cmp_gt_f32_e64 s[4:5], 0, v18
	v_cndmask_b32_e32 v3, v25, v1, vcc
	v_cmp_gt_f32_e32 vcc, 0, v2
	s_xor_b64 s[4:5], s[4:5], s[2:3]
	v_cndmask_b32_e32 v1, v1, v3, vcc
	v_cmp_eq_f32_e32 vcc, s14, v27
	v_cndmask_b32_e64 v3, v24, 0, s[4:5]
	v_cndmask_b32_e64 v4, 0, v2, s[0:1]
	v_bfi_b32 v3, s21, v3, v4
	s_or_b64 vcc, vcc, s[2:3]
	v_cndmask_b32_e32 v1, v1, v3, vcc
	v_sub_f32_e32 v1, 1.0, v1
	v_div_scale_f32 v3, s[0:1], v1, v1, 1.0
	v_rcp_f32_e32 v4, v3
	v_div_fixup_f32 v5, v21, v20, 1.0
	v_cmp_o_f32_e32 vcc, v19, v19
	v_cndmask_b32_e32 v28, v25, v5, vcc
	v_fma_f32 v5, -v3, v4, 1.0
	v_fmac_f32_e32 v4, v5, v4
	v_div_scale_f32 v5, vcc, 1.0, v1, 1.0
	v_mul_f32_e32 v6, v5, v4
	v_fma_f32 v7, -v3, v6, v5
	v_fmac_f32_e32 v6, v7, v4
	v_fma_f32 v3, -v3, v6, v5
	v_div_fmas_f32 v3, v3, v4, v6
	v_div_fixup_f32 v1, v3, v1, 1.0
	v_cmp_o_f32_e32 vcc, v2, v2
	v_cndmask_b32_e32 v29, v25, v1, vcc
	v_mbcnt_lo_u32_b32 v1, -1, 0
	v_lshlrev_b32_e32 v2, 3, v0
	v_mbcnt_hi_u32_b32 v1, -1, v1
	v_and_b32_e32 v2, 0xe00, v2
	v_or_b32_e32 v32, v1, v2
	v_lshlrev_b32_e32 v6, 2, v2
	v_add_u32_e32 v33, 64, v32
	v_lshrrev_b32_e32 v2, 5, v32
	v_or_b32_e32 v34, 0x80, v32
	v_add_lshl_u32 v40, v2, v32, 2
	v_lshrrev_b32_e32 v2, 5, v33
	v_add_u32_e32 v35, 0xc0, v32
	v_add_lshl_u32 v41, v2, v33, 2
	v_lshrrev_b32_e32 v2, 5, v34
	v_or_b32_e32 v36, 0x100, v32
	v_add_lshl_u32 v42, v2, v34, 2
	v_lshrrev_b32_e32 v2, 5, v35
	v_add_u32_e32 v37, 0x140, v32
	v_add_lshl_u32 v43, v2, v35, 2
	v_lshrrev_b32_e32 v2, 5, v36
	v_or_b32_e32 v38, 0x180, v32
	v_add_lshl_u32 v44, v2, v36, 2
	v_lshrrev_b32_e32 v2, 5, v37
	v_lshlrev_b32_e32 v3, 2, v1
	v_add_u32_e32 v39, 0x1c0, v32
	v_add_lshl_u32 v45, v2, v37, 2
	v_lshrrev_b32_e32 v2, 5, v38
	s_waitcnt lgkmcnt(0)
	v_mov_b32_e32 v4, s7
	v_add_co_u32_e32 v5, vcc, s6, v3
	v_add_lshl_u32 v46, v2, v38, 2
	v_lshrrev_b32_e32 v2, 5, v39
	v_addc_co_u32_e32 v4, vcc, 0, v4, vcc
	v_add_lshl_u32 v47, v2, v39, 2
	v_and_b32_e32 v2, 0x1c0, v0
	v_add_co_u32_e32 v30, vcc, v5, v6
	v_add_u32_e32 v2, v1, v2
	v_addc_co_u32_e32 v31, vcc, 0, v4, vcc
	v_lshlrev_b32_e32 v4, 3, v2
	v_bfe_u32 v2, v2, 2, 27
	v_add_lshl_u32 v48, v2, v4, 2
	v_mov_b32_e32 v2, s9
	v_add_co_u32_e32 v4, vcc, s8, v3
	v_addc_co_u32_e32 v2, vcc, 0, v2, vcc
	v_add_co_u32_e32 v49, vcc, v4, v6
	v_addc_co_u32_e32 v50, vcc, 0, v2, vcc
	v_mov_b32_e32 v2, s11
	v_add_co_u32_e32 v4, vcc, s10, v3
	v_addc_co_u32_e32 v2, vcc, 0, v2, vcc
	v_add_co_u32_e32 v51, vcc, v4, v6
	v_addc_co_u32_e32 v52, vcc, 0, v2, vcc
	v_lshrrev_b32_e32 v2, 4, v0
	v_and_b32_e32 v56, 28, v2
	v_and_b32_e32 v2, 7, v1
	v_cmp_ne_u32_e32 vcc, 7, v2
	s_load_dword s12, s[12:13], 0x0
	v_or_b32_e32 v55, 0xfc, v3
	v_addc_co_u32_e32 v3, vcc, 0, v1, vcc
	v_cmp_gt_u32_e32 vcc, 6, v2
	v_lshlrev_b32_e32 v58, 2, v3
	v_cndmask_b32_e64 v3, 0, 1, vcc
	v_cmp_gt_u32_e32 vcc, 4, v2
	v_lshlrev_b32_e32 v57, 2, v2
	v_cndmask_b32_e64 v2, 0, 1, vcc
	v_lshlrev_b32_e32 v3, 1, v3
	v_lshlrev_b32_e32 v2, 2, v2
	v_sub_f32_e64 v53, 1.0, s24
	v_sub_f32_e64 v54, 1.0, s25
	v_cmp_eq_u32_e64 s[0:1], 0, v1
	v_cmp_gt_u32_e64 s[2:3], 64, v0
	v_add_lshl_u32 v59, v3, v1, 2
	v_add_lshl_u32 v60, v2, v1, 2
	v_cmp_eq_u32_e64 s[4:5], 0, v0
	s_waitcnt lgkmcnt(0)
	s_lshl_b32 s27, s12, 12
	s_mov_b32 s36, 0xf800000
	v_mov_b32_e32 v0, 0x260
	v_mov_b32_e32 v1, 0
	s_branch .LBB62_3
.LBB62_2:                               ;   in Loop: Header=BB62_3 Depth=1
	s_or_b64 exec, exec, s[6:7]
	s_add_i32 s28, s28, s27
	s_cmp_ge_u32 s28, s33
	s_cbranch_scc1 .LBB62_62
.LBB62_3:                               ; =>This Loop Header: Depth=1
                                        ;     Child Loop BB62_36 Depth 2
                                        ;     Child Loop BB62_39 Depth 2
	s_lshl_b64 s[34:35], s[28:29], 2
	s_sub_i32 s6, s23, s28
	v_mov_b32_e32 v2, s35
	v_add_co_u32_e32 v10, vcc, s34, v30
	s_mov_b32 s8, s29
	s_mov_b32 s9, s29
	s_min_u32 s20, s6, 0x1000
	v_addc_co_u32_e32 v11, vcc, v31, v2, vcc
	s_mov_b32 s10, s29
	s_mov_b32 s11, s29
	;; [unrolled: 1-line block ×6, first 2 shown]
	v_pk_mov_b32 v[2:3], s[8:9], s[8:9] op_sel:[0,1]
	v_cmp_gt_u32_e32 vcc, s20, v32
	v_pk_mov_b32 v[4:5], s[10:11], s[10:11] op_sel:[0,1]
	v_pk_mov_b32 v[6:7], s[12:13], s[12:13] op_sel:[0,1]
	;; [unrolled: 1-line block ×3, first 2 shown]
	v_mov_b32_e32 v12, 0
	s_barrier
	s_and_saveexec_b64 s[6:7], vcc
	s_cbranch_execnz .LBB62_41
; %bb.4:                                ;   in Loop: Header=BB62_3 Depth=1
	s_or_b64 exec, exec, s[6:7]
	v_cmp_gt_u32_e64 s[6:7], s20, v33
	s_and_saveexec_b64 s[8:9], s[6:7]
	s_cbranch_execnz .LBB62_42
.LBB62_5:                               ;   in Loop: Header=BB62_3 Depth=1
	s_or_b64 exec, exec, s[8:9]
	v_cmp_gt_u32_e64 s[8:9], s20, v34
	s_and_saveexec_b64 s[10:11], s[8:9]
	s_cbranch_execnz .LBB62_43
.LBB62_6:                               ;   in Loop: Header=BB62_3 Depth=1
	s_or_b64 exec, exec, s[10:11]
	v_cmp_gt_u32_e64 s[10:11], s20, v35
	s_and_saveexec_b64 s[12:13], s[10:11]
	s_cbranch_execnz .LBB62_44
.LBB62_7:                               ;   in Loop: Header=BB62_3 Depth=1
	s_or_b64 exec, exec, s[12:13]
	v_cmp_gt_u32_e64 s[12:13], s20, v36
	s_and_saveexec_b64 s[14:15], s[12:13]
	s_cbranch_execnz .LBB62_45
.LBB62_8:                               ;   in Loop: Header=BB62_3 Depth=1
	s_or_b64 exec, exec, s[14:15]
	v_cmp_gt_u32_e64 s[14:15], s20, v37
	s_and_saveexec_b64 s[16:17], s[14:15]
	s_cbranch_execnz .LBB62_46
.LBB62_9:                               ;   in Loop: Header=BB62_3 Depth=1
	s_or_b64 exec, exec, s[16:17]
	v_cmp_gt_u32_e64 s[16:17], s20, v38
	s_and_saveexec_b64 s[18:19], s[16:17]
	s_cbranch_execnz .LBB62_47
.LBB62_10:                              ;   in Loop: Header=BB62_3 Depth=1
	s_or_b64 exec, exec, s[18:19]
	v_cmp_gt_u32_e64 s[18:19], s20, v39
	s_and_saveexec_b64 s[20:21], s[18:19]
	s_cbranch_execz .LBB62_12
.LBB62_11:                              ;   in Loop: Header=BB62_3 Depth=1
	global_load_dword v9, v[10:11], off offset:1792
.LBB62_12:                              ;   in Loop: Header=BB62_3 Depth=1
	s_or_b64 exec, exec, s[20:21]
	s_waitcnt vmcnt(0)
	ds_write_b32 v40, v12
	ds_write_b32 v41, v3
	;; [unrolled: 1-line block ×8, first 2 shown]
	; wave barrier
	ds_read2_b32 v[22:23], v48 offset1:1
	ds_read2_b32 v[20:21], v48 offset0:2 offset1:3
	ds_read2_b32 v[16:17], v48 offset0:4 offset1:5
	;; [unrolled: 1-line block ×3, first 2 shown]
	v_mov_b32_e32 v2, s35
	v_add_co_u32_e64 v10, s[20:21], s34, v49
	s_mov_b32 s40, s29
	s_mov_b32 s41, s29
	v_addc_co_u32_e64 v11, s[20:21], v50, v2, s[20:21]
	s_mov_b32 s42, s29
	s_mov_b32 s43, s29
	;; [unrolled: 1-line block ×6, first 2 shown]
	v_pk_mov_b32 v[2:3], s[40:41], s[40:41] op_sel:[0,1]
	v_pk_mov_b32 v[4:5], s[42:43], s[42:43] op_sel:[0,1]
	;; [unrolled: 1-line block ×4, first 2 shown]
	v_mov_b32_e32 v12, 0
	s_waitcnt lgkmcnt(0)
	s_barrier
	s_and_saveexec_b64 s[20:21], vcc
	s_cbranch_execnz .LBB62_48
; %bb.13:                               ;   in Loop: Header=BB62_3 Depth=1
	s_or_b64 exec, exec, s[20:21]
	s_and_saveexec_b64 s[20:21], s[6:7]
	s_cbranch_execnz .LBB62_49
.LBB62_14:                              ;   in Loop: Header=BB62_3 Depth=1
	s_or_b64 exec, exec, s[20:21]
	s_and_saveexec_b64 s[20:21], s[8:9]
	s_cbranch_execnz .LBB62_50
.LBB62_15:                              ;   in Loop: Header=BB62_3 Depth=1
	s_or_b64 exec, exec, s[20:21]
	s_and_saveexec_b64 s[20:21], s[10:11]
	s_cbranch_execnz .LBB62_51
.LBB62_16:                              ;   in Loop: Header=BB62_3 Depth=1
	s_or_b64 exec, exec, s[20:21]
	s_and_saveexec_b64 s[20:21], s[12:13]
	s_cbranch_execnz .LBB62_52
.LBB62_17:                              ;   in Loop: Header=BB62_3 Depth=1
	s_or_b64 exec, exec, s[20:21]
	s_and_saveexec_b64 s[20:21], s[14:15]
	s_cbranch_execnz .LBB62_53
.LBB62_18:                              ;   in Loop: Header=BB62_3 Depth=1
	s_or_b64 exec, exec, s[20:21]
	s_and_saveexec_b64 s[20:21], s[16:17]
	s_cbranch_execnz .LBB62_54
.LBB62_19:                              ;   in Loop: Header=BB62_3 Depth=1
	s_or_b64 exec, exec, s[20:21]
	s_and_saveexec_b64 s[20:21], s[18:19]
	s_cbranch_execz .LBB62_21
.LBB62_20:                              ;   in Loop: Header=BB62_3 Depth=1
	global_load_dword v9, v[10:11], off offset:1792
.LBB62_21:                              ;   in Loop: Header=BB62_3 Depth=1
	s_or_b64 exec, exec, s[20:21]
	s_waitcnt vmcnt(0)
	ds_write_b32 v40, v12
	ds_write_b32 v41, v3
	;; [unrolled: 1-line block ×8, first 2 shown]
	; wave barrier
	ds_read2_b32 v[24:25], v48 offset1:1
	ds_read2_b32 v[18:19], v48 offset0:2 offset1:3
	ds_read2_b32 v[12:13], v48 offset0:4 offset1:5
	;; [unrolled: 1-line block ×3, first 2 shown]
	v_mov_b32_e32 v2, s35
	v_add_co_u32_e64 v26, s[20:21], s34, v51
	s_mov_b32 s40, s29
	s_mov_b32 s41, s29
	v_addc_co_u32_e64 v27, s[20:21], v52, v2, s[20:21]
	s_mov_b32 s42, s29
	s_mov_b32 s43, s29
	;; [unrolled: 1-line block ×6, first 2 shown]
	v_pk_mov_b32 v[2:3], s[40:41], s[40:41] op_sel:[0,1]
	v_pk_mov_b32 v[4:5], s[42:43], s[42:43] op_sel:[0,1]
	;; [unrolled: 1-line block ×4, first 2 shown]
	v_mov_b32_e32 v61, 0
	s_waitcnt lgkmcnt(0)
	s_barrier
	s_and_saveexec_b64 s[20:21], vcc
	s_cbranch_execnz .LBB62_55
; %bb.22:                               ;   in Loop: Header=BB62_3 Depth=1
	s_or_b64 exec, exec, s[20:21]
	s_and_saveexec_b64 s[20:21], s[6:7]
	s_cbranch_execnz .LBB62_56
.LBB62_23:                              ;   in Loop: Header=BB62_3 Depth=1
	s_or_b64 exec, exec, s[20:21]
	s_and_saveexec_b64 s[6:7], s[8:9]
	s_cbranch_execnz .LBB62_57
.LBB62_24:                              ;   in Loop: Header=BB62_3 Depth=1
	s_or_b64 exec, exec, s[6:7]
	s_and_saveexec_b64 s[6:7], s[10:11]
	s_cbranch_execnz .LBB62_58
.LBB62_25:                              ;   in Loop: Header=BB62_3 Depth=1
	s_or_b64 exec, exec, s[6:7]
	s_and_saveexec_b64 s[6:7], s[12:13]
	s_cbranch_execnz .LBB62_59
.LBB62_26:                              ;   in Loop: Header=BB62_3 Depth=1
	s_or_b64 exec, exec, s[6:7]
	s_and_saveexec_b64 s[6:7], s[14:15]
	s_cbranch_execnz .LBB62_60
.LBB62_27:                              ;   in Loop: Header=BB62_3 Depth=1
	s_or_b64 exec, exec, s[6:7]
	s_and_saveexec_b64 s[6:7], s[16:17]
	s_cbranch_execnz .LBB62_61
.LBB62_28:                              ;   in Loop: Header=BB62_3 Depth=1
	s_or_b64 exec, exec, s[6:7]
	s_and_saveexec_b64 s[6:7], s[18:19]
	s_cbranch_execz .LBB62_30
.LBB62_29:                              ;   in Loop: Header=BB62_3 Depth=1
	global_load_dword v9, v[26:27], off offset:1792
.LBB62_30:                              ;   in Loop: Header=BB62_3 Depth=1
	s_or_b64 exec, exec, s[6:7]
	v_mul_f32_e32 v22, s22, v22
	s_waitcnt vmcnt(0)
	ds_write_b32 v40, v61
	ds_write_b32 v41, v3
	;; [unrolled: 1-line block ×8, first 2 shown]
	; wave barrier
	ds_read2_b32 v[4:5], v48 offset1:1
	ds_read2_b32 v[6:7], v48 offset0:2 offset1:3
	ds_read2_b32 v[8:9], v48 offset0:4 offset1:5
	ds_read2_b32 v[2:3], v48 offset0:6 offset1:7
	v_mul_f32_e32 v26, v22, v22
	v_mul_f32_e32 v26, v54, v26
	s_waitcnt lgkmcnt(3)
	v_fmac_f32_e32 v26, s25, v4
	v_mul_f32_e32 v4, v29, v26
	v_mul_f32_e32 v26, 0x4f800000, v4
	v_cmp_gt_f32_e32 vcc, s36, v4
	v_cndmask_b32_e32 v4, v4, v26, vcc
	v_sqrt_f32_e32 v26, v4
	v_mul_f32_e32 v22, v53, v22
	v_fmac_f32_e32 v22, s24, v24
	v_mul_f32_e32 v22, v28, v22
	v_add_u32_e32 v24, -1, v26
	v_fma_f32 v27, -v24, v26, v4
	v_cmp_ge_f32_e64 s[6:7], 0, v27
	v_add_u32_e32 v27, 1, v26
	v_cndmask_b32_e64 v24, v26, v24, s[6:7]
	v_fma_f32 v26, -v27, v26, v4
	v_cmp_lt_f32_e64 s[6:7], 0, v26
	v_cndmask_b32_e64 v24, v24, v27, s[6:7]
	v_mul_f32_e32 v26, 0x37800000, v24
	v_cndmask_b32_e32 v24, v24, v26, vcc
	v_cmp_class_f32_e32 vcc, v4, v0
	v_cndmask_b32_e32 v4, v24, v4, vcc
	v_add_f32_e32 v4, s26, v4
	v_div_scale_f32 v24, s[6:7], v4, v4, v22
	v_rcp_f32_e32 v26, v24
	v_mul_f32_e32 v23, s22, v23
	v_mul_f32_e32 v20, s22, v20
	;; [unrolled: 1-line block ×3, first 2 shown]
	v_fma_f32 v27, -v24, v26, 1.0
	v_fmac_f32_e32 v26, v27, v26
	v_div_scale_f32 v27, vcc, v22, v4, v22
	v_mul_f32_e32 v61, v27, v26
	v_fma_f32 v62, -v24, v61, v27
	v_fmac_f32_e32 v61, v62, v26
	v_fma_f32 v24, -v24, v61, v27
	v_mul_f32_e32 v27, v23, v23
	v_mul_f32_e32 v27, v54, v27
	v_fmac_f32_e32 v27, s25, v5
	v_mul_f32_e32 v5, v29, v27
	v_mul_f32_e32 v27, 0x4f800000, v5
	v_cmp_gt_f32_e64 s[6:7], s36, v5
	v_cndmask_b32_e64 v5, v5, v27, s[6:7]
	v_sqrt_f32_e32 v27, v5
	v_mul_f32_e32 v23, v53, v23
	v_fmac_f32_e32 v23, s24, v25
	v_mul_f32_e32 v23, v28, v23
	v_add_u32_e32 v25, -1, v27
	v_fma_f32 v62, -v25, v27, v5
	v_cmp_ge_f32_e64 s[8:9], 0, v62
	v_add_u32_e32 v62, 1, v27
	v_cndmask_b32_e64 v25, v27, v25, s[8:9]
	v_fma_f32 v27, -v62, v27, v5
	v_cmp_lt_f32_e64 s[8:9], 0, v27
	v_cndmask_b32_e64 v25, v25, v62, s[8:9]
	v_mul_f32_e32 v27, 0x37800000, v25
	v_cndmask_b32_e64 v25, v25, v27, s[6:7]
	v_cmp_class_f32_e64 s[6:7], v5, v0
	v_cndmask_b32_e64 v5, v25, v5, s[6:7]
	v_add_f32_e32 v5, s26, v5
	v_div_scale_f32 v25, s[6:7], v5, v5, v23
	v_rcp_f32_e32 v27, v25
	v_div_fmas_f32 v24, v24, v26, v61
	v_div_fixup_f32 v4, v24, v4, v22
	v_mul_f32_e32 v16, s22, v16
	v_fma_f32 v22, -v25, v27, 1.0
	v_fmac_f32_e32 v27, v22, v27
	v_div_scale_f32 v22, vcc, v23, v5, v23
	v_mul_f32_e32 v24, v22, v27
	v_fma_f32 v26, -v25, v24, v22
	v_fmac_f32_e32 v24, v26, v27
	v_fma_f32 v22, -v25, v24, v22
	v_mul_f32_e32 v25, v20, v20
	v_mul_f32_e32 v25, v54, v25
	s_waitcnt lgkmcnt(2)
	v_fmac_f32_e32 v25, s25, v6
	v_mul_f32_e32 v6, v29, v25
	v_mul_f32_e32 v25, 0x4f800000, v6
	v_cmp_gt_f32_e64 s[6:7], s36, v6
	v_cndmask_b32_e64 v6, v6, v25, s[6:7]
	v_sqrt_f32_e32 v25, v6
	v_mul_f32_e32 v20, v53, v20
	v_fmac_f32_e32 v20, s24, v18
	v_mul_f32_e32 v18, v28, v20
	v_add_u32_e32 v20, -1, v25
	v_fma_f32 v26, -v20, v25, v6
	v_cmp_ge_f32_e64 s[8:9], 0, v26
	v_add_u32_e32 v26, 1, v25
	v_cndmask_b32_e64 v20, v25, v20, s[8:9]
	v_fma_f32 v25, -v26, v25, v6
	v_cmp_lt_f32_e64 s[8:9], 0, v25
	v_cndmask_b32_e64 v20, v20, v26, s[8:9]
	v_mul_f32_e32 v25, 0x37800000, v20
	v_cndmask_b32_e64 v20, v20, v25, s[6:7]
	v_cmp_class_f32_e64 s[6:7], v6, v0
	v_cndmask_b32_e64 v6, v20, v6, s[6:7]
	v_add_f32_e32 v6, s26, v6
	v_div_scale_f32 v20, s[6:7], v6, v6, v18
	v_rcp_f32_e32 v25, v20
	v_div_fmas_f32 v22, v22, v27, v24
	v_div_fixup_f32 v5, v22, v5, v23
	v_mul_f32_e32 v17, s22, v17
	v_fma_f32 v22, -v20, v25, 1.0
	v_fmac_f32_e32 v25, v22, v25
	v_div_scale_f32 v22, vcc, v18, v6, v18
	v_mul_f32_e32 v23, v22, v25
	v_fma_f32 v24, -v20, v23, v22
	v_fmac_f32_e32 v23, v24, v25
	v_fma_f32 v20, -v20, v23, v22
	v_mul_f32_e32 v22, v21, v21
	v_mul_f32_e32 v22, v54, v22
	v_fmac_f32_e32 v22, s25, v7
	v_mul_f32_e32 v7, v29, v22
	v_mul_f32_e32 v22, 0x4f800000, v7
	v_cmp_gt_f32_e64 s[6:7], s36, v7
	v_cndmask_b32_e64 v7, v7, v22, s[6:7]
	v_sqrt_f32_e32 v22, v7
	v_mul_f32_e32 v21, v53, v21
	v_fmac_f32_e32 v21, s24, v19
	v_mul_f32_e32 v19, v28, v21
	v_add_u32_e32 v21, -1, v22
	v_fma_f32 v24, -v21, v22, v7
	v_cmp_ge_f32_e64 s[8:9], 0, v24
	v_add_u32_e32 v24, 1, v22
	v_cndmask_b32_e64 v21, v22, v21, s[8:9]
	v_fma_f32 v22, -v24, v22, v7
	v_cmp_lt_f32_e64 s[8:9], 0, v22
	v_cndmask_b32_e64 v21, v21, v24, s[8:9]
	v_mul_f32_e32 v22, 0x37800000, v21
	v_cndmask_b32_e64 v21, v21, v22, s[6:7]
	v_cmp_class_f32_e64 s[6:7], v7, v0
	v_cndmask_b32_e64 v7, v21, v7, s[6:7]
	v_add_f32_e32 v7, s26, v7
	v_div_scale_f32 v21, s[6:7], v7, v7, v19
	v_rcp_f32_e32 v22, v21
	v_div_fmas_f32 v20, v20, v25, v23
	v_div_fixup_f32 v6, v20, v6, v18
	v_mul_f32_e32 v14, s22, v14
	v_fma_f32 v18, -v21, v22, 1.0
	v_fmac_f32_e32 v22, v18, v22
	v_div_scale_f32 v18, vcc, v19, v7, v19
	v_mul_f32_e32 v20, v18, v22
	v_fma_f32 v23, -v21, v20, v18
	v_fmac_f32_e32 v20, v23, v22
	v_fma_f32 v18, -v21, v20, v18
	v_mul_f32_e32 v21, v16, v16
	v_mul_f32_e32 v21, v54, v21
	s_waitcnt lgkmcnt(1)
	v_fmac_f32_e32 v21, s25, v8
	v_mul_f32_e32 v8, v29, v21
	v_mul_f32_e32 v21, 0x4f800000, v8
	v_cmp_gt_f32_e64 s[6:7], s36, v8
	v_cndmask_b32_e64 v8, v8, v21, s[6:7]
	v_sqrt_f32_e32 v21, v8
	v_mul_f32_e32 v16, v53, v16
	v_fmac_f32_e32 v16, s24, v12
	v_mul_f32_e32 v12, v28, v16
	v_add_u32_e32 v16, -1, v21
	v_fma_f32 v23, -v16, v21, v8
	v_cmp_ge_f32_e64 s[8:9], 0, v23
	v_add_u32_e32 v23, 1, v21
	v_cndmask_b32_e64 v16, v21, v16, s[8:9]
	v_fma_f32 v21, -v23, v21, v8
	v_cmp_lt_f32_e64 s[8:9], 0, v21
	v_cndmask_b32_e64 v16, v16, v23, s[8:9]
	v_mul_f32_e32 v21, 0x37800000, v16
	v_cndmask_b32_e64 v16, v16, v21, s[6:7]
	v_cmp_class_f32_e64 s[6:7], v8, v0
	v_cndmask_b32_e64 v8, v16, v8, s[6:7]
	v_add_f32_e32 v8, s26, v8
	v_div_scale_f32 v16, s[6:7], v8, v8, v12
	v_rcp_f32_e32 v21, v16
	v_div_fmas_f32 v18, v18, v22, v20
	v_div_fixup_f32 v7, v18, v7, v19
	v_mul_f32_e32 v15, s22, v15
	v_fma_f32 v18, -v16, v21, 1.0
	v_fmac_f32_e32 v21, v18, v21
	v_div_scale_f32 v18, vcc, v12, v8, v12
	v_mul_f32_e32 v19, v18, v21
	v_fma_f32 v20, -v16, v19, v18
	v_fmac_f32_e32 v19, v20, v21
	v_fma_f32 v16, -v16, v19, v18
	v_mul_f32_e32 v18, v17, v17
	v_mul_f32_e32 v18, v54, v18
	v_fmac_f32_e32 v18, s25, v9
	v_mul_f32_e32 v9, v29, v18
	v_mul_f32_e32 v18, 0x4f800000, v9
	v_cmp_gt_f32_e64 s[6:7], s36, v9
	v_cndmask_b32_e64 v9, v9, v18, s[6:7]
	v_sqrt_f32_e32 v18, v9
	v_mul_f32_e32 v17, v53, v17
	v_fmac_f32_e32 v17, s24, v13
	v_mul_f32_e32 v13, v28, v17
	v_add_u32_e32 v17, -1, v18
	v_fma_f32 v20, -v17, v18, v9
	v_cmp_ge_f32_e64 s[8:9], 0, v20
	v_add_u32_e32 v20, 1, v18
	v_cndmask_b32_e64 v17, v18, v17, s[8:9]
	v_fma_f32 v18, -v20, v18, v9
	v_cmp_lt_f32_e64 s[8:9], 0, v18
	v_cndmask_b32_e64 v17, v17, v20, s[8:9]
	v_mul_f32_e32 v18, 0x37800000, v17
	v_cndmask_b32_e64 v17, v17, v18, s[6:7]
	v_cmp_class_f32_e64 s[6:7], v9, v0
	v_cndmask_b32_e64 v9, v17, v9, s[6:7]
	v_add_f32_e32 v9, s26, v9
	v_div_scale_f32 v17, s[6:7], v9, v9, v13
	v_rcp_f32_e32 v18, v17
	v_div_fmas_f32 v16, v16, v21, v19
	v_div_fixup_f32 v8, v16, v8, v12
	v_mul_f32_e32 v5, v5, v5
	v_fma_f32 v12, -v17, v18, 1.0
	v_fmac_f32_e32 v18, v12, v18
	v_div_scale_f32 v12, vcc, v13, v9, v13
	v_mul_f32_e32 v16, v12, v18
	v_fma_f32 v19, -v17, v16, v12
	v_fmac_f32_e32 v16, v19, v18
	v_fma_f32 v12, -v17, v16, v12
	v_mul_f32_e32 v17, v14, v14
	v_mul_f32_e32 v17, v54, v17
	s_waitcnt lgkmcnt(0)
	v_fmac_f32_e32 v17, s25, v2
	v_mul_f32_e32 v2, v29, v17
	v_mul_f32_e32 v17, 0x4f800000, v2
	v_cmp_gt_f32_e64 s[6:7], s36, v2
	v_cndmask_b32_e64 v2, v2, v17, s[6:7]
	v_sqrt_f32_e32 v17, v2
	v_mul_f32_e32 v14, v53, v14
	v_fmac_f32_e32 v14, s24, v10
	v_mul_f32_e32 v10, v28, v14
	v_add_u32_e32 v14, -1, v17
	v_fma_f32 v19, -v14, v17, v2
	v_cmp_ge_f32_e64 s[8:9], 0, v19
	v_add_u32_e32 v19, 1, v17
	v_cndmask_b32_e64 v14, v17, v14, s[8:9]
	v_fma_f32 v17, -v19, v17, v2
	v_cmp_lt_f32_e64 s[8:9], 0, v17
	v_cndmask_b32_e64 v14, v14, v19, s[8:9]
	v_mul_f32_e32 v17, 0x37800000, v14
	v_cndmask_b32_e64 v14, v14, v17, s[6:7]
	v_cmp_class_f32_e64 s[6:7], v2, v0
	v_cndmask_b32_e64 v2, v14, v2, s[6:7]
	v_add_f32_e32 v2, s26, v2
	v_div_scale_f32 v14, s[6:7], v2, v2, v10
	v_rcp_f32_e32 v17, v14
	v_div_fmas_f32 v12, v12, v18, v16
	v_div_fixup_f32 v9, v12, v9, v13
	v_fmac_f32_e32 v5, v4, v4
	v_fma_f32 v12, -v14, v17, 1.0
	v_fmac_f32_e32 v17, v12, v17
	v_div_scale_f32 v12, vcc, v10, v2, v10
	v_mul_f32_e32 v13, v12, v17
	v_fma_f32 v16, -v14, v13, v12
	v_fmac_f32_e32 v13, v16, v17
	v_fma_f32 v12, -v14, v13, v12
	v_mul_f32_e32 v14, v15, v15
	v_mul_f32_e32 v14, v54, v14
	v_fmac_f32_e32 v14, s25, v3
	v_mul_f32_e32 v3, v29, v14
	v_mul_f32_e32 v14, 0x4f800000, v3
	v_cmp_gt_f32_e64 s[6:7], s36, v3
	v_cndmask_b32_e64 v3, v3, v14, s[6:7]
	v_sqrt_f32_e32 v14, v3
	v_mul_f32_e32 v15, v53, v15
	v_fmac_f32_e32 v15, s24, v11
	v_mul_f32_e32 v11, v28, v15
	v_add_u32_e32 v15, -1, v14
	v_fma_f32 v16, -v15, v14, v3
	v_cmp_ge_f32_e64 s[8:9], 0, v16
	v_add_u32_e32 v16, 1, v14
	v_cndmask_b32_e64 v15, v14, v15, s[8:9]
	v_fma_f32 v14, -v16, v14, v3
	v_cmp_lt_f32_e64 s[8:9], 0, v14
	v_cndmask_b32_e64 v14, v15, v16, s[8:9]
	v_mul_f32_e32 v15, 0x37800000, v14
	v_cndmask_b32_e64 v14, v14, v15, s[6:7]
	v_cmp_class_f32_e64 s[6:7], v3, v0
	v_cndmask_b32_e64 v3, v14, v3, s[6:7]
	v_add_f32_e32 v3, s26, v3
	v_div_scale_f32 v14, s[6:7], v3, v3, v11
	v_rcp_f32_e32 v15, v14
	v_div_fmas_f32 v12, v12, v17, v13
	v_div_fixup_f32 v2, v12, v2, v10
	v_fmac_f32_e32 v5, v6, v6
	v_fma_f32 v10, -v14, v15, 1.0
	v_fmac_f32_e32 v15, v10, v15
	v_div_scale_f32 v10, vcc, v11, v3, v11
	v_mul_f32_e32 v12, v10, v15
	v_fma_f32 v13, -v14, v12, v10
	v_fmac_f32_e32 v12, v13, v15
	v_fmac_f32_e32 v5, v7, v7
	v_fma_f32 v10, -v14, v12, v10
	v_fmac_f32_e32 v5, v8, v8
	v_div_fmas_f32 v10, v10, v15, v12
	v_fmac_f32_e32 v5, v9, v9
	v_div_fixup_f32 v3, v10, v3, v11
	v_fmac_f32_e32 v5, v2, v2
	v_fmac_f32_e32 v5, v3, v3
	s_barrier
	s_nop 0
	v_mov_b32_dpp v2, v5 quad_perm:[1,0,3,2] row_mask:0xf bank_mask:0xf
	v_add_f32_e32 v2, v5, v2
	s_nop 1
	v_mov_b32_dpp v3, v2 quad_perm:[2,3,0,1] row_mask:0xf bank_mask:0xf
	v_add_f32_e32 v2, v2, v3
	s_nop 1
	v_mov_b32_dpp v3, v2 row_ror:4 row_mask:0xf bank_mask:0xf
	v_add_f32_e32 v2, v2, v3
	s_nop 1
	v_mov_b32_dpp v3, v2 row_ror:8 row_mask:0xf bank_mask:0xf
	v_add_f32_e32 v2, v2, v3
	s_nop 1
	v_mov_b32_dpp v3, v2 row_bcast:15 row_mask:0xf bank_mask:0xf
	v_add_f32_e32 v2, v2, v3
	s_nop 1
	v_mov_b32_dpp v3, v2 row_bcast:31 row_mask:0xf bank_mask:0xf
	v_add_f32_e32 v2, v2, v3
	ds_bpermute_b32 v2, v55, v2
	s_and_saveexec_b64 s[6:7], s[0:1]
	s_cbranch_execz .LBB62_32
; %bb.31:                               ;   in Loop: Header=BB62_3 Depth=1
	s_waitcnt lgkmcnt(0)
	ds_write_b32 v56, v2
.LBB62_32:                              ;   in Loop: Header=BB62_3 Depth=1
	s_or_b64 exec, exec, s[6:7]
	s_waitcnt lgkmcnt(0)
	s_barrier
	s_and_saveexec_b64 s[6:7], s[2:3]
	s_cbranch_execz .LBB62_34
; %bb.33:                               ;   in Loop: Header=BB62_3 Depth=1
	ds_read_b32 v2, v57
	s_waitcnt lgkmcnt(0)
	ds_bpermute_b32 v3, v58, v2
	s_waitcnt lgkmcnt(0)
	v_add_f32_e32 v2, v2, v3
	ds_bpermute_b32 v3, v59, v2
	s_waitcnt lgkmcnt(0)
	v_add_f32_e32 v2, v2, v3
	;; [unrolled: 3-line block ×3, first 2 shown]
.LBB62_34:                              ;   in Loop: Header=BB62_3 Depth=1
	s_or_b64 exec, exec, s[6:7]
	s_and_saveexec_b64 s[6:7], s[4:5]
	s_cbranch_execz .LBB62_2
; %bb.35:                               ;   in Loop: Header=BB62_3 Depth=1
	s_mov_b64 s[8:9], exec
	v_bfrev_b32_e32 v4, 1
.LBB62_36:                              ;   Parent Loop BB62_3 Depth=1
                                        ; =>  This Inner Loop Header: Depth=2
	s_ff1_i32_b64 s10, s[8:9]
	v_readlane_b32 s12, v2, s10
	s_lshl_b64 s[10:11], 1, s10
	s_andn2_b64 s[8:9], s[8:9], s[10:11]
	s_cmp_lg_u64 s[8:9], 0
	v_add_f32_e32 v4, s12, v4
	s_cbranch_scc1 .LBB62_36
; %bb.37:                               ;   in Loop: Header=BB62_3 Depth=1
	v_mbcnt_lo_u32_b32 v2, exec_lo, 0
	v_mbcnt_hi_u32_b32 v2, exec_hi, v2
	v_cmp_eq_u32_e32 vcc, 0, v2
	s_and_saveexec_b64 s[8:9], vcc
	s_xor_b64 s[8:9], exec, s[8:9]
	s_cbranch_execz .LBB62_2
; %bb.38:                               ;   in Loop: Header=BB62_3 Depth=1
	global_load_dword v3, v1, s[30:31]
	s_mov_b64 s[8:9], 0
.LBB62_39:                              ;   Parent Loop BB62_3 Depth=1
                                        ; =>  This Inner Loop Header: Depth=2
	s_waitcnt vmcnt(0)
	v_add_f32_e32 v2, v3, v4
	global_atomic_cmpswap v2, v1, v[2:3], s[30:31] glc
	s_waitcnt vmcnt(0)
	v_cmp_eq_u32_e32 vcc, v2, v3
	s_or_b64 s[8:9], vcc, s[8:9]
	v_mov_b32_e32 v3, v2
	s_andn2_b64 exec, exec, s[8:9]
	s_cbranch_execnz .LBB62_39
; %bb.40:                               ;   in Loop: Header=BB62_3 Depth=1
	s_or_b64 exec, exec, s[8:9]
	s_branch .LBB62_2
.LBB62_41:                              ;   in Loop: Header=BB62_3 Depth=1
	global_load_dword v12, v[10:11], off
	v_mov_b32_e32 v2, v1
	v_mov_b32_e32 v3, v1
	;; [unrolled: 1-line block ×6, first 2 shown]
	v_pk_mov_b32 v[8:9], v[6:7], v[6:7] op_sel:[0,1]
	v_pk_mov_b32 v[6:7], v[4:5], v[4:5] op_sel:[0,1]
	;; [unrolled: 1-line block ×4, first 2 shown]
	s_or_b64 exec, exec, s[6:7]
	v_cmp_gt_u32_e64 s[6:7], s20, v33
	s_and_saveexec_b64 s[8:9], s[6:7]
	s_cbranch_execz .LBB62_5
.LBB62_42:                              ;   in Loop: Header=BB62_3 Depth=1
	global_load_dword v3, v[10:11], off offset:256
	s_or_b64 exec, exec, s[8:9]
	v_cmp_gt_u32_e64 s[8:9], s20, v34
	s_and_saveexec_b64 s[10:11], s[8:9]
	s_cbranch_execz .LBB62_6
.LBB62_43:                              ;   in Loop: Header=BB62_3 Depth=1
	global_load_dword v4, v[10:11], off offset:512
	s_or_b64 exec, exec, s[10:11]
	v_cmp_gt_u32_e64 s[10:11], s20, v35
	s_and_saveexec_b64 s[12:13], s[10:11]
	s_cbranch_execz .LBB62_7
.LBB62_44:                              ;   in Loop: Header=BB62_3 Depth=1
	global_load_dword v5, v[10:11], off offset:768
	s_or_b64 exec, exec, s[12:13]
	v_cmp_gt_u32_e64 s[12:13], s20, v36
	s_and_saveexec_b64 s[14:15], s[12:13]
	s_cbranch_execz .LBB62_8
.LBB62_45:                              ;   in Loop: Header=BB62_3 Depth=1
	global_load_dword v6, v[10:11], off offset:1024
	s_or_b64 exec, exec, s[14:15]
	v_cmp_gt_u32_e64 s[14:15], s20, v37
	s_and_saveexec_b64 s[16:17], s[14:15]
	s_cbranch_execz .LBB62_9
.LBB62_46:                              ;   in Loop: Header=BB62_3 Depth=1
	global_load_dword v7, v[10:11], off offset:1280
	s_or_b64 exec, exec, s[16:17]
	v_cmp_gt_u32_e64 s[16:17], s20, v38
	s_and_saveexec_b64 s[18:19], s[16:17]
	s_cbranch_execz .LBB62_10
.LBB62_47:                              ;   in Loop: Header=BB62_3 Depth=1
	global_load_dword v8, v[10:11], off offset:1536
	s_or_b64 exec, exec, s[18:19]
	v_cmp_gt_u32_e64 s[18:19], s20, v39
	s_and_saveexec_b64 s[20:21], s[18:19]
	s_cbranch_execnz .LBB62_11
	s_branch .LBB62_12
.LBB62_48:                              ;   in Loop: Header=BB62_3 Depth=1
	global_load_dword v12, v[10:11], off
	v_mov_b32_e32 v2, v1
	v_mov_b32_e32 v3, v1
	;; [unrolled: 1-line block ×6, first 2 shown]
	v_pk_mov_b32 v[8:9], v[6:7], v[6:7] op_sel:[0,1]
	v_pk_mov_b32 v[6:7], v[4:5], v[4:5] op_sel:[0,1]
	;; [unrolled: 1-line block ×4, first 2 shown]
	s_or_b64 exec, exec, s[20:21]
	s_and_saveexec_b64 s[20:21], s[6:7]
	s_cbranch_execz .LBB62_14
.LBB62_49:                              ;   in Loop: Header=BB62_3 Depth=1
	global_load_dword v3, v[10:11], off offset:256
	s_or_b64 exec, exec, s[20:21]
	s_and_saveexec_b64 s[20:21], s[8:9]
	s_cbranch_execz .LBB62_15
.LBB62_50:                              ;   in Loop: Header=BB62_3 Depth=1
	global_load_dword v4, v[10:11], off offset:512
	s_or_b64 exec, exec, s[20:21]
	s_and_saveexec_b64 s[20:21], s[10:11]
	s_cbranch_execz .LBB62_16
.LBB62_51:                              ;   in Loop: Header=BB62_3 Depth=1
	global_load_dword v5, v[10:11], off offset:768
	s_or_b64 exec, exec, s[20:21]
	s_and_saveexec_b64 s[20:21], s[12:13]
	s_cbranch_execz .LBB62_17
.LBB62_52:                              ;   in Loop: Header=BB62_3 Depth=1
	global_load_dword v6, v[10:11], off offset:1024
	s_or_b64 exec, exec, s[20:21]
	s_and_saveexec_b64 s[20:21], s[14:15]
	s_cbranch_execz .LBB62_18
.LBB62_53:                              ;   in Loop: Header=BB62_3 Depth=1
	global_load_dword v7, v[10:11], off offset:1280
	s_or_b64 exec, exec, s[20:21]
	s_and_saveexec_b64 s[20:21], s[16:17]
	s_cbranch_execz .LBB62_19
.LBB62_54:                              ;   in Loop: Header=BB62_3 Depth=1
	global_load_dword v8, v[10:11], off offset:1536
	s_or_b64 exec, exec, s[20:21]
	s_and_saveexec_b64 s[20:21], s[18:19]
	s_cbranch_execnz .LBB62_20
	s_branch .LBB62_21
.LBB62_55:                              ;   in Loop: Header=BB62_3 Depth=1
	global_load_dword v61, v[26:27], off
	v_mov_b32_e32 v2, v1
	v_mov_b32_e32 v3, v1
	;; [unrolled: 1-line block ×6, first 2 shown]
	v_pk_mov_b32 v[8:9], v[6:7], v[6:7] op_sel:[0,1]
	v_pk_mov_b32 v[6:7], v[4:5], v[4:5] op_sel:[0,1]
	;; [unrolled: 1-line block ×4, first 2 shown]
	s_or_b64 exec, exec, s[20:21]
	s_and_saveexec_b64 s[20:21], s[6:7]
	s_cbranch_execz .LBB62_23
.LBB62_56:                              ;   in Loop: Header=BB62_3 Depth=1
	global_load_dword v3, v[26:27], off offset:256
	s_or_b64 exec, exec, s[20:21]
	s_and_saveexec_b64 s[6:7], s[8:9]
	s_cbranch_execz .LBB62_24
.LBB62_57:                              ;   in Loop: Header=BB62_3 Depth=1
	global_load_dword v4, v[26:27], off offset:512
	s_or_b64 exec, exec, s[6:7]
	s_and_saveexec_b64 s[6:7], s[10:11]
	s_cbranch_execz .LBB62_25
.LBB62_58:                              ;   in Loop: Header=BB62_3 Depth=1
	global_load_dword v5, v[26:27], off offset:768
	s_or_b64 exec, exec, s[6:7]
	s_and_saveexec_b64 s[6:7], s[12:13]
	s_cbranch_execz .LBB62_26
.LBB62_59:                              ;   in Loop: Header=BB62_3 Depth=1
	global_load_dword v6, v[26:27], off offset:1024
	s_or_b64 exec, exec, s[6:7]
	s_and_saveexec_b64 s[6:7], s[14:15]
	s_cbranch_execz .LBB62_27
.LBB62_60:                              ;   in Loop: Header=BB62_3 Depth=1
	global_load_dword v7, v[26:27], off offset:1280
	s_or_b64 exec, exec, s[6:7]
	s_and_saveexec_b64 s[6:7], s[16:17]
	s_cbranch_execz .LBB62_28
.LBB62_61:                              ;   in Loop: Header=BB62_3 Depth=1
	global_load_dword v8, v[26:27], off offset:1536
	s_or_b64 exec, exec, s[6:7]
	s_and_saveexec_b64 s[6:7], s[18:19]
	s_cbranch_execnz .LBB62_29
	s_branch .LBB62_30
.LBB62_62:
	s_endpgm
	.section	.rodata,"a",@progbits
	.p2align	6, 0x0
	.amdhsa_kernel _Z33kPreconditionOptimizer32bit2StateIfLi0ELi4096ELi8EEvPT_S1_PfS2_S2_ffffiffi
		.amdhsa_group_segment_fixed_size 16896
		.amdhsa_private_segment_fixed_size 0
		.amdhsa_kernarg_size 328
		.amdhsa_user_sgpr_count 6
		.amdhsa_user_sgpr_private_segment_buffer 1
		.amdhsa_user_sgpr_dispatch_ptr 0
		.amdhsa_user_sgpr_queue_ptr 0
		.amdhsa_user_sgpr_kernarg_segment_ptr 1
		.amdhsa_user_sgpr_dispatch_id 0
		.amdhsa_user_sgpr_flat_scratch_init 0
		.amdhsa_user_sgpr_kernarg_preload_length 0
		.amdhsa_user_sgpr_kernarg_preload_offset 0
		.amdhsa_user_sgpr_private_segment_size 0
		.amdhsa_uses_dynamic_stack 0
		.amdhsa_system_sgpr_private_segment_wavefront_offset 0
		.amdhsa_system_sgpr_workgroup_id_x 1
		.amdhsa_system_sgpr_workgroup_id_y 0
		.amdhsa_system_sgpr_workgroup_id_z 0
		.amdhsa_system_sgpr_workgroup_info 0
		.amdhsa_system_vgpr_workitem_id 0
		.amdhsa_next_free_vgpr 63
		.amdhsa_next_free_sgpr 48
		.amdhsa_accum_offset 64
		.amdhsa_reserve_vcc 1
		.amdhsa_reserve_flat_scratch 0
		.amdhsa_float_round_mode_32 0
		.amdhsa_float_round_mode_16_64 0
		.amdhsa_float_denorm_mode_32 3
		.amdhsa_float_denorm_mode_16_64 3
		.amdhsa_dx10_clamp 1
		.amdhsa_ieee_mode 1
		.amdhsa_fp16_overflow 0
		.amdhsa_tg_split 0
		.amdhsa_exception_fp_ieee_invalid_op 0
		.amdhsa_exception_fp_denorm_src 0
		.amdhsa_exception_fp_ieee_div_zero 0
		.amdhsa_exception_fp_ieee_overflow 0
		.amdhsa_exception_fp_ieee_underflow 0
		.amdhsa_exception_fp_ieee_inexact 0
		.amdhsa_exception_int_div_zero 0
	.end_amdhsa_kernel
	.section	.text._Z33kPreconditionOptimizer32bit2StateIfLi0ELi4096ELi8EEvPT_S1_PfS2_S2_ffffiffi,"axG",@progbits,_Z33kPreconditionOptimizer32bit2StateIfLi0ELi4096ELi8EEvPT_S1_PfS2_S2_ffffiffi,comdat
.Lfunc_end62:
	.size	_Z33kPreconditionOptimizer32bit2StateIfLi0ELi4096ELi8EEvPT_S1_PfS2_S2_ffffiffi, .Lfunc_end62-_Z33kPreconditionOptimizer32bit2StateIfLi0ELi4096ELi8EEvPT_S1_PfS2_S2_ffffiffi
                                        ; -- End function
	.section	.AMDGPU.csdata,"",@progbits
; Kernel info:
; codeLenInByte = 6588
; NumSgprs: 52
; NumVgprs: 63
; NumAgprs: 0
; TotalNumVgprs: 63
; ScratchSize: 0
; MemoryBound: 0
; FloatMode: 240
; IeeeMode: 1
; LDSByteSize: 16896 bytes/workgroup (compile time only)
; SGPRBlocks: 6
; VGPRBlocks: 7
; NumSGPRsForWavesPerEU: 52
; NumVGPRsForWavesPerEU: 63
; AccumOffset: 64
; Occupancy: 6
; WaveLimiterHint : 0
; COMPUTE_PGM_RSRC2:SCRATCH_EN: 0
; COMPUTE_PGM_RSRC2:USER_SGPR: 6
; COMPUTE_PGM_RSRC2:TRAP_HANDLER: 0
; COMPUTE_PGM_RSRC2:TGID_X_EN: 1
; COMPUTE_PGM_RSRC2:TGID_Y_EN: 0
; COMPUTE_PGM_RSRC2:TGID_Z_EN: 0
; COMPUTE_PGM_RSRC2:TIDIG_COMP_CNT: 0
; COMPUTE_PGM_RSRC3_GFX90A:ACCUM_OFFSET: 15
; COMPUTE_PGM_RSRC3_GFX90A:TG_SPLIT: 0
	.section	.text._Z33kPreconditionOptimizer32bit2StateI6__halfLi0ELi4096ELi8EEvPT_S2_PfS3_S3_ffffiffi,"axG",@progbits,_Z33kPreconditionOptimizer32bit2StateI6__halfLi0ELi4096ELi8EEvPT_S2_PfS3_S3_ffffiffi,comdat
